;; amdgpu-corpus repo=ROCm/rocFFT kind=compiled arch=gfx1201 opt=O3
	.text
	.amdgcn_target "amdgcn-amd-amdhsa--gfx1201"
	.amdhsa_code_object_version 6
	.protected	fft_rtc_fwd_len275_factors_11_5_5_wgs_55_tpt_55_dp_op_CI_CI_unitstride_sbrr_dirReg ; -- Begin function fft_rtc_fwd_len275_factors_11_5_5_wgs_55_tpt_55_dp_op_CI_CI_unitstride_sbrr_dirReg
	.globl	fft_rtc_fwd_len275_factors_11_5_5_wgs_55_tpt_55_dp_op_CI_CI_unitstride_sbrr_dirReg
	.p2align	8
	.type	fft_rtc_fwd_len275_factors_11_5_5_wgs_55_tpt_55_dp_op_CI_CI_unitstride_sbrr_dirReg,@function
fft_rtc_fwd_len275_factors_11_5_5_wgs_55_tpt_55_dp_op_CI_CI_unitstride_sbrr_dirReg: ; @fft_rtc_fwd_len275_factors_11_5_5_wgs_55_tpt_55_dp_op_CI_CI_unitstride_sbrr_dirReg
; %bb.0:
	s_clause 0x2
	s_load_b128 s[8:11], s[0:1], 0x0
	s_load_b128 s[4:7], s[0:1], 0x58
	;; [unrolled: 1-line block ×3, first 2 shown]
	v_mul_u32_u24_e32 v1, 0x4a8, v0
	v_mov_b32_e32 v51, 0
	v_mov_b32_e32 v52, 0
	s_delay_alu instid0(VALU_DEP_3) | instskip(SKIP_1) | instid1(VALU_DEP_1)
	v_lshrrev_b32_e32 v2, 16, v1
	v_mov_b32_e32 v1, 0
	v_dual_mov_b32 v4, v1 :: v_dual_add_nc_u32 v3, ttmp9, v2
	s_wait_kmcnt 0x0
	v_cmp_lt_u64_e64 s2, s[10:11], 2
	s_delay_alu instid0(VALU_DEP_1)
	s_and_b32 vcc_lo, exec_lo, s2
	s_cbranch_vccnz .LBB0_8
; %bb.1:
	s_load_b64 s[2:3], s[0:1], 0x10
	v_mov_b32_e32 v51, 0
	v_mov_b32_e32 v52, 0
	s_delay_alu instid0(VALU_DEP_2)
	v_mov_b32_e32 v44, v51
	s_add_nc_u64 s[16:17], s[14:15], 8
	s_add_nc_u64 s[18:19], s[12:13], 8
	s_mov_b64 s[20:21], 1
	v_mov_b32_e32 v45, v52
	s_wait_kmcnt 0x0
	s_add_nc_u64 s[22:23], s[2:3], 8
	s_mov_b32 s3, 0
.LBB0_2:                                ; =>This Inner Loop Header: Depth=1
	s_load_b64 s[24:25], s[22:23], 0x0
                                        ; implicit-def: $vgpr46_vgpr47
	s_mov_b32 s2, exec_lo
	s_wait_kmcnt 0x0
	v_or_b32_e32 v2, s25, v4
	s_delay_alu instid0(VALU_DEP_1)
	v_cmpx_ne_u64_e32 0, v[1:2]
	s_wait_alu 0xfffe
	s_xor_b32 s26, exec_lo, s2
	s_cbranch_execz .LBB0_4
; %bb.3:                                ;   in Loop: Header=BB0_2 Depth=1
	s_cvt_f32_u32 s2, s24
	s_cvt_f32_u32 s27, s25
	s_sub_nc_u64 s[30:31], 0, s[24:25]
	s_wait_alu 0xfffe
	s_delay_alu instid0(SALU_CYCLE_1) | instskip(SKIP_1) | instid1(SALU_CYCLE_2)
	s_fmamk_f32 s2, s27, 0x4f800000, s2
	s_wait_alu 0xfffe
	v_s_rcp_f32 s2, s2
	s_delay_alu instid0(TRANS32_DEP_1) | instskip(SKIP_1) | instid1(SALU_CYCLE_2)
	s_mul_f32 s2, s2, 0x5f7ffffc
	s_wait_alu 0xfffe
	s_mul_f32 s27, s2, 0x2f800000
	s_wait_alu 0xfffe
	s_delay_alu instid0(SALU_CYCLE_2) | instskip(SKIP_1) | instid1(SALU_CYCLE_2)
	s_trunc_f32 s27, s27
	s_wait_alu 0xfffe
	s_fmamk_f32 s2, s27, 0xcf800000, s2
	s_cvt_u32_f32 s29, s27
	s_wait_alu 0xfffe
	s_delay_alu instid0(SALU_CYCLE_1) | instskip(SKIP_1) | instid1(SALU_CYCLE_2)
	s_cvt_u32_f32 s28, s2
	s_wait_alu 0xfffe
	s_mul_u64 s[34:35], s[30:31], s[28:29]
	s_wait_alu 0xfffe
	s_mul_hi_u32 s37, s28, s35
	s_mul_i32 s36, s28, s35
	s_mul_hi_u32 s2, s28, s34
	s_mul_i32 s33, s29, s34
	s_wait_alu 0xfffe
	s_add_nc_u64 s[36:37], s[2:3], s[36:37]
	s_mul_hi_u32 s27, s29, s34
	s_mul_hi_u32 s38, s29, s35
	s_add_co_u32 s2, s36, s33
	s_wait_alu 0xfffe
	s_add_co_ci_u32 s2, s37, s27
	s_mul_i32 s34, s29, s35
	s_add_co_ci_u32 s35, s38, 0
	s_wait_alu 0xfffe
	s_add_nc_u64 s[34:35], s[2:3], s[34:35]
	s_wait_alu 0xfffe
	v_add_co_u32 v2, s2, s28, s34
	s_delay_alu instid0(VALU_DEP_1) | instskip(SKIP_1) | instid1(VALU_DEP_1)
	s_cmp_lg_u32 s2, 0
	s_add_co_ci_u32 s29, s29, s35
	v_readfirstlane_b32 s28, v2
	s_wait_alu 0xfffe
	s_delay_alu instid0(VALU_DEP_1)
	s_mul_u64 s[30:31], s[30:31], s[28:29]
	s_wait_alu 0xfffe
	s_mul_hi_u32 s35, s28, s31
	s_mul_i32 s34, s28, s31
	s_mul_hi_u32 s2, s28, s30
	s_mul_i32 s33, s29, s30
	s_wait_alu 0xfffe
	s_add_nc_u64 s[34:35], s[2:3], s[34:35]
	s_mul_hi_u32 s27, s29, s30
	s_mul_hi_u32 s28, s29, s31
	s_wait_alu 0xfffe
	s_add_co_u32 s2, s34, s33
	s_add_co_ci_u32 s2, s35, s27
	s_mul_i32 s30, s29, s31
	s_add_co_ci_u32 s31, s28, 0
	s_wait_alu 0xfffe
	s_add_nc_u64 s[30:31], s[2:3], s[30:31]
	s_wait_alu 0xfffe
	v_add_co_u32 v2, s2, v2, s30
	s_delay_alu instid0(VALU_DEP_1) | instskip(SKIP_1) | instid1(VALU_DEP_1)
	s_cmp_lg_u32 s2, 0
	s_add_co_ci_u32 s2, s29, s31
	v_mul_hi_u32 v11, v3, v2
	s_wait_alu 0xfffe
	v_mad_co_u64_u32 v[5:6], null, v3, s2, 0
	v_mad_co_u64_u32 v[7:8], null, v4, v2, 0
	;; [unrolled: 1-line block ×3, first 2 shown]
	s_delay_alu instid0(VALU_DEP_3) | instskip(SKIP_1) | instid1(VALU_DEP_4)
	v_add_co_u32 v2, vcc_lo, v11, v5
	s_wait_alu 0xfffd
	v_add_co_ci_u32_e32 v5, vcc_lo, 0, v6, vcc_lo
	s_delay_alu instid0(VALU_DEP_2) | instskip(SKIP_1) | instid1(VALU_DEP_2)
	v_add_co_u32 v2, vcc_lo, v2, v7
	s_wait_alu 0xfffd
	v_add_co_ci_u32_e32 v2, vcc_lo, v5, v8, vcc_lo
	s_wait_alu 0xfffd
	v_add_co_ci_u32_e32 v5, vcc_lo, 0, v10, vcc_lo
	s_delay_alu instid0(VALU_DEP_2) | instskip(SKIP_1) | instid1(VALU_DEP_2)
	v_add_co_u32 v2, vcc_lo, v2, v9
	s_wait_alu 0xfffd
	v_add_co_ci_u32_e32 v7, vcc_lo, 0, v5, vcc_lo
	s_delay_alu instid0(VALU_DEP_2) | instskip(SKIP_1) | instid1(VALU_DEP_3)
	v_mul_lo_u32 v8, s25, v2
	v_mad_co_u64_u32 v[5:6], null, s24, v2, 0
	v_mul_lo_u32 v9, s24, v7
	s_delay_alu instid0(VALU_DEP_2) | instskip(NEXT) | instid1(VALU_DEP_2)
	v_sub_co_u32 v5, vcc_lo, v3, v5
	v_add3_u32 v6, v6, v9, v8
	s_delay_alu instid0(VALU_DEP_1) | instskip(SKIP_1) | instid1(VALU_DEP_1)
	v_sub_nc_u32_e32 v8, v4, v6
	s_wait_alu 0xfffd
	v_subrev_co_ci_u32_e64 v8, s2, s25, v8, vcc_lo
	v_add_co_u32 v9, s2, v2, 2
	s_wait_alu 0xf1ff
	v_add_co_ci_u32_e64 v10, s2, 0, v7, s2
	v_sub_co_u32 v11, s2, v5, s24
	v_sub_co_ci_u32_e32 v6, vcc_lo, v4, v6, vcc_lo
	s_wait_alu 0xf1ff
	v_subrev_co_ci_u32_e64 v8, s2, 0, v8, s2
	s_delay_alu instid0(VALU_DEP_3) | instskip(NEXT) | instid1(VALU_DEP_3)
	v_cmp_le_u32_e32 vcc_lo, s24, v11
	v_cmp_eq_u32_e64 s2, s25, v6
	s_wait_alu 0xfffd
	v_cndmask_b32_e64 v11, 0, -1, vcc_lo
	v_cmp_le_u32_e32 vcc_lo, s25, v8
	s_wait_alu 0xfffd
	v_cndmask_b32_e64 v12, 0, -1, vcc_lo
	v_cmp_le_u32_e32 vcc_lo, s24, v5
	;; [unrolled: 3-line block ×3, first 2 shown]
	s_wait_alu 0xfffd
	v_cndmask_b32_e64 v13, 0, -1, vcc_lo
	v_cmp_eq_u32_e32 vcc_lo, s25, v8
	s_wait_alu 0xf1ff
	s_delay_alu instid0(VALU_DEP_2)
	v_cndmask_b32_e64 v5, v13, v5, s2
	s_wait_alu 0xfffd
	v_cndmask_b32_e32 v8, v12, v11, vcc_lo
	v_add_co_u32 v11, vcc_lo, v2, 1
	s_wait_alu 0xfffd
	v_add_co_ci_u32_e32 v12, vcc_lo, 0, v7, vcc_lo
	s_delay_alu instid0(VALU_DEP_3) | instskip(SKIP_1) | instid1(VALU_DEP_2)
	v_cmp_ne_u32_e32 vcc_lo, 0, v8
	s_wait_alu 0xfffd
	v_cndmask_b32_e32 v6, v12, v10, vcc_lo
	v_cndmask_b32_e32 v8, v11, v9, vcc_lo
	v_cmp_ne_u32_e32 vcc_lo, 0, v5
	s_wait_alu 0xfffd
	s_delay_alu instid0(VALU_DEP_2)
	v_dual_cndmask_b32 v47, v7, v6 :: v_dual_cndmask_b32 v46, v2, v8
.LBB0_4:                                ;   in Loop: Header=BB0_2 Depth=1
	s_wait_alu 0xfffe
	s_and_not1_saveexec_b32 s2, s26
	s_cbranch_execz .LBB0_6
; %bb.5:                                ;   in Loop: Header=BB0_2 Depth=1
	v_cvt_f32_u32_e32 v2, s24
	s_sub_co_i32 s26, 0, s24
	v_mov_b32_e32 v47, v1
	s_delay_alu instid0(VALU_DEP_2) | instskip(NEXT) | instid1(TRANS32_DEP_1)
	v_rcp_iflag_f32_e32 v2, v2
	v_mul_f32_e32 v2, 0x4f7ffffe, v2
	s_delay_alu instid0(VALU_DEP_1) | instskip(SKIP_1) | instid1(VALU_DEP_1)
	v_cvt_u32_f32_e32 v2, v2
	s_wait_alu 0xfffe
	v_mul_lo_u32 v5, s26, v2
	s_delay_alu instid0(VALU_DEP_1) | instskip(NEXT) | instid1(VALU_DEP_1)
	v_mul_hi_u32 v5, v2, v5
	v_add_nc_u32_e32 v2, v2, v5
	s_delay_alu instid0(VALU_DEP_1) | instskip(NEXT) | instid1(VALU_DEP_1)
	v_mul_hi_u32 v2, v3, v2
	v_mul_lo_u32 v5, v2, s24
	v_add_nc_u32_e32 v6, 1, v2
	s_delay_alu instid0(VALU_DEP_2) | instskip(NEXT) | instid1(VALU_DEP_1)
	v_sub_nc_u32_e32 v5, v3, v5
	v_subrev_nc_u32_e32 v7, s24, v5
	v_cmp_le_u32_e32 vcc_lo, s24, v5
	s_wait_alu 0xfffd
	s_delay_alu instid0(VALU_DEP_2) | instskip(NEXT) | instid1(VALU_DEP_1)
	v_dual_cndmask_b32 v5, v5, v7 :: v_dual_cndmask_b32 v2, v2, v6
	v_cmp_le_u32_e32 vcc_lo, s24, v5
	s_delay_alu instid0(VALU_DEP_2) | instskip(SKIP_1) | instid1(VALU_DEP_1)
	v_add_nc_u32_e32 v6, 1, v2
	s_wait_alu 0xfffd
	v_cndmask_b32_e32 v46, v2, v6, vcc_lo
.LBB0_6:                                ;   in Loop: Header=BB0_2 Depth=1
	s_wait_alu 0xfffe
	s_or_b32 exec_lo, exec_lo, s2
	v_mul_lo_u32 v2, v47, s24
	s_delay_alu instid0(VALU_DEP_2)
	v_mul_lo_u32 v7, v46, s25
	s_load_b64 s[26:27], s[18:19], 0x0
	v_mad_co_u64_u32 v[5:6], null, v46, s24, 0
	s_load_b64 s[24:25], s[16:17], 0x0
	s_add_nc_u64 s[20:21], s[20:21], 1
	s_add_nc_u64 s[16:17], s[16:17], 8
	s_wait_alu 0xfffe
	v_cmp_ge_u64_e64 s2, s[20:21], s[10:11]
	s_add_nc_u64 s[18:19], s[18:19], 8
	s_add_nc_u64 s[22:23], s[22:23], 8
	v_add3_u32 v2, v6, v7, v2
	v_sub_co_u32 v3, vcc_lo, v3, v5
	s_wait_alu 0xfffd
	s_delay_alu instid0(VALU_DEP_2) | instskip(SKIP_2) | instid1(VALU_DEP_1)
	v_sub_co_ci_u32_e32 v2, vcc_lo, v4, v2, vcc_lo
	s_and_b32 vcc_lo, exec_lo, s2
	s_wait_kmcnt 0x0
	v_mul_lo_u32 v4, s26, v2
	v_mul_lo_u32 v5, s27, v3
	v_mad_co_u64_u32 v[51:52], null, s26, v3, v[51:52]
	v_mul_lo_u32 v2, s24, v2
	v_mul_lo_u32 v6, s25, v3
	v_mad_co_u64_u32 v[44:45], null, s24, v3, v[44:45]
	s_delay_alu instid0(VALU_DEP_4) | instskip(NEXT) | instid1(VALU_DEP_2)
	v_add3_u32 v52, v5, v52, v4
	v_add3_u32 v45, v6, v45, v2
	s_wait_alu 0xfffe
	s_cbranch_vccnz .LBB0_9
; %bb.7:                                ;   in Loop: Header=BB0_2 Depth=1
	v_dual_mov_b32 v3, v46 :: v_dual_mov_b32 v4, v47
	s_branch .LBB0_2
.LBB0_8:
	v_dual_mov_b32 v44, v51 :: v_dual_mov_b32 v45, v52
	v_dual_mov_b32 v47, v4 :: v_dual_mov_b32 v46, v3
.LBB0_9:
	s_load_b64 s[0:1], s[0:1], 0x28
	s_lshl_b64 s[10:11], s[10:11], 3
	v_mul_hi_u32 v1, 0x4a7904b, v0
	s_wait_alu 0xfffe
	s_add_nc_u64 s[2:3], s[14:15], s[10:11]
	v_mov_b32_e32 v48, 0
	s_load_b64 s[2:3], s[2:3], 0x0
                                        ; implicit-def: $vgpr2_vgpr3
                                        ; implicit-def: $vgpr6_vgpr7
                                        ; implicit-def: $vgpr14_vgpr15
                                        ; implicit-def: $vgpr18_vgpr19
                                        ; implicit-def: $vgpr22_vgpr23
                                        ; implicit-def: $vgpr26_vgpr27
                                        ; implicit-def: $vgpr30_vgpr31
                                        ; implicit-def: $vgpr38_vgpr39
                                        ; implicit-def: $vgpr34_vgpr35
                                        ; implicit-def: $vgpr42_vgpr43
                                        ; implicit-def: $vgpr10_vgpr11
	s_delay_alu instid0(VALU_DEP_2) | instskip(NEXT) | instid1(VALU_DEP_1)
	v_mul_u32_u24_e32 v1, 55, v1
	v_sub_nc_u32_e32 v49, v0, v1
	s_wait_kmcnt 0x0
	v_cmp_gt_u64_e32 vcc_lo, s[0:1], v[46:47]
	s_and_saveexec_b32 s1, vcc_lo
	s_cbranch_execz .LBB0_13
; %bb.10:
	s_mov_b32 s14, exec_lo
                                        ; implicit-def: $vgpr8_vgpr9
                                        ; implicit-def: $vgpr40_vgpr41
                                        ; implicit-def: $vgpr32_vgpr33
                                        ; implicit-def: $vgpr36_vgpr37
                                        ; implicit-def: $vgpr28_vgpr29
                                        ; implicit-def: $vgpr24_vgpr25
                                        ; implicit-def: $vgpr20_vgpr21
                                        ; implicit-def: $vgpr16_vgpr17
                                        ; implicit-def: $vgpr12_vgpr13
                                        ; implicit-def: $vgpr4_vgpr5
                                        ; implicit-def: $vgpr0_vgpr1
	v_cmpx_gt_u32_e32 25, v49
	s_cbranch_execz .LBB0_12
; %bb.11:
	s_add_nc_u64 s[10:11], s[12:13], s[10:11]
	v_mov_b32_e32 v50, 0
	s_load_b64 s[10:11], s[10:11], 0x0
	s_wait_kmcnt 0x0
	v_mul_lo_u32 v2, s11, v46
	v_mul_lo_u32 v3, s10, v47
	v_mad_co_u64_u32 v[0:1], null, s10, v46, 0
	s_delay_alu instid0(VALU_DEP_1) | instskip(SKIP_1) | instid1(VALU_DEP_2)
	v_add3_u32 v1, v1, v3, v2
	v_lshlrev_b64_e32 v[2:3], 4, v[51:52]
	v_lshlrev_b64_e32 v[0:1], 4, v[0:1]
	s_delay_alu instid0(VALU_DEP_1) | instskip(SKIP_1) | instid1(VALU_DEP_2)
	v_add_co_u32 v4, s0, s4, v0
	s_wait_alu 0xf1ff
	v_add_co_ci_u32_e64 v5, s0, s5, v1, s0
	v_lshlrev_b64_e32 v[0:1], 4, v[49:50]
	s_delay_alu instid0(VALU_DEP_3) | instskip(SKIP_1) | instid1(VALU_DEP_3)
	v_add_co_u32 v2, s0, v4, v2
	s_wait_alu 0xf1ff
	v_add_co_ci_u32_e64 v3, s0, v5, v3, s0
	s_delay_alu instid0(VALU_DEP_2) | instskip(SKIP_1) | instid1(VALU_DEP_2)
	v_add_co_u32 v0, s0, v2, v0
	s_wait_alu 0xf1ff
	v_add_co_ci_u32_e64 v1, s0, v3, v1, s0
	s_clause 0xa
	global_load_b128 v[8:11], v[0:1], off
	global_load_b128 v[40:43], v[0:1], off offset:400
	global_load_b128 v[32:35], v[0:1], off offset:800
	;; [unrolled: 1-line block ×10, first 2 shown]
.LBB0_12:
	s_or_b32 exec_lo, exec_lo, s14
	v_mov_b32_e32 v48, v49
.LBB0_13:
	s_wait_alu 0xfffe
	s_or_b32 exec_lo, exec_lo, s1
	s_delay_alu instid0(SALU_CYCLE_1)
	s_mov_b32 s33, exec_lo
	v_cmpx_gt_u32_e32 25, v49
	s_cbranch_execz .LBB0_15
; %bb.14:
	s_wait_loadcnt 0x9
	v_add_f64_e32 v[50:51], v[42:43], v[10:11]
	v_add_f64_e32 v[52:53], v[40:41], v[8:9]
	s_wait_loadcnt 0x0
	v_add_f64_e64 v[56:57], v[40:41], -v[0:1]
	v_add_f64_e64 v[66:67], v[38:39], -v[14:15]
	;; [unrolled: 1-line block ×3, first 2 shown]
	v_add_f64_e32 v[78:79], v[14:15], v[38:39]
	v_add_f64_e64 v[54:55], v[28:29], -v[16:17]
	v_add_f64_e64 v[58:59], v[30:31], -v[18:19]
	v_add_f64_e64 v[60:61], v[24:25], -v[20:21]
	v_add_f64_e64 v[62:63], v[26:27], -v[22:23]
	v_add_f64_e64 v[64:65], v[36:37], -v[12:13]
	s_mov_b32 s20, 0xbb3a28a1
	s_mov_b32 s18, 0xfd768dbf
	;; [unrolled: 1-line block ×4, first 2 shown]
	v_add_f64_e32 v[70:71], v[2:3], v[42:43]
	v_add_f64_e32 v[72:73], v[0:1], v[40:41]
	v_add_f64_e32 v[74:75], v[18:19], v[30:31]
	v_add_f64_e64 v[80:81], v[32:33], -v[4:5]
	s_mov_b32 s24, 0x43842ef
	s_mov_b32 s23, 0x3fed1bb4
	;; [unrolled: 1-line block ×8, first 2 shown]
	v_add_f64_e32 v[76:77], v[16:17], v[28:29]
	s_mov_b32 s10, 0x7f775887
	s_mov_b32 s12, 0x9bcd5057
	;; [unrolled: 1-line block ×6, first 2 shown]
	s_wait_alu 0xfffe
	s_mov_b32 s28, s24
	s_mov_b32 s30, s18
	v_add_f64_e32 v[42:43], v[22:23], v[26:27]
	s_mov_b32 s0, 0x640f44db
	v_add_f64_e32 v[50:51], v[34:35], v[50:51]
	v_add_f64_e32 v[52:53], v[32:33], v[52:53]
	v_mul_f64_e32 v[82:83], s[18:19], v[56:57]
	v_mul_f64_e32 v[84:85], s[20:21], v[56:57]
	;; [unrolled: 1-line block ×10, first 2 shown]
	s_mov_b32 s23, 0xbfed1bb4
	v_mul_f64_e32 v[86:87], s[24:25], v[56:57]
	v_mul_f64_e32 v[102:103], s[24:25], v[68:69]
	;; [unrolled: 1-line block ×4, first 2 shown]
	s_wait_alu 0xfffe
	v_mul_f64_e32 v[56:57], s[22:23], v[56:57]
	v_mul_f64_e32 v[68:69], s[22:23], v[68:69]
	v_add_f64_e32 v[32:33], v[4:5], v[32:33]
	v_mul_f64_e32 v[116:117], s[20:21], v[64:65]
	v_mul_f64_e32 v[118:119], s[26:27], v[64:65]
	v_mul_f64_e32 v[120:121], s[30:31], v[64:65]
	v_mul_f64_e32 v[64:65], s[24:25], v[64:65]
	v_mul_f64_e32 v[122:123], s[16:17], v[80:81]
	v_mul_f64_e32 v[124:125], s[28:29], v[80:81]
	s_mov_b32 s1, 0xbfc2375f
	s_mov_b32 s4, 0xd9c712b6
	;; [unrolled: 1-line block ×5, first 2 shown]
	v_mul_f64_e32 v[126:127], s[30:31], v[80:81]
	v_add_f64_e32 v[40:41], v[20:21], v[24:25]
	v_mul_f64_e32 v[128:129], s[20:21], v[80:81]
	v_mul_f64_e32 v[80:81], s[22:23], v[80:81]
	;; [unrolled: 1-line block ×5, first 2 shown]
	v_add_f64_e32 v[38:39], v[38:39], v[50:51]
	v_add_f64_e32 v[50:51], v[36:37], v[52:53]
	;; [unrolled: 1-line block ×3, first 2 shown]
	v_add_f64_e64 v[34:35], v[34:35], -v[6:7]
	v_fma_f64 v[154:155], v[70:71], s[12:13], -v[82:83]
	v_fma_f64 v[156:157], v[70:71], s[10:11], -v[84:85]
	v_fma_f64 v[84:85], v[70:71], s[10:11], v[84:85]
	v_fma_f64 v[162:163], v[72:73], s[12:13], v[94:95]
	v_fma_f64 v[94:95], v[72:73], s[12:13], -v[94:95]
	v_fma_f64 v[164:165], v[72:73], s[10:11], v[98:99]
	v_fma_f64 v[98:99], v[72:73], s[10:11], -v[98:99]
	v_fma_f64 v[82:83], v[70:71], s[12:13], v[82:83]
	v_add_f64_e32 v[36:37], v[12:13], v[36:37]
	s_wait_alu 0xfffe
	v_fma_f64 v[158:159], v[70:71], s[0:1], -v[86:87]
	v_fma_f64 v[86:87], v[70:71], s[0:1], v[86:87]
	v_fma_f64 v[166:167], v[72:73], s[0:1], v[102:103]
	v_fma_f64 v[102:103], v[72:73], s[0:1], -v[102:103]
	v_fma_f64 v[160:161], v[70:71], s[14:15], -v[90:91]
	v_fma_f64 v[90:91], v[70:71], s[14:15], v[90:91]
	v_fma_f64 v[180:181], v[70:71], s[4:5], v[56:57]
	v_fma_f64 v[182:183], v[72:73], s[4:5], -v[68:69]
	;; [unrolled: 4-line block ×3, first 2 shown]
	v_fma_f64 v[104:105], v[78:79], s[4:5], v[104:105]
	v_fma_f64 v[172:173], v[78:79], s[12:13], -v[120:121]
	v_fma_f64 v[120:121], v[78:79], s[12:13], v[120:121]
	v_fma_f64 v[174:175], v[78:79], s[0:1], -v[64:65]
	v_fma_f64 v[64:65], v[78:79], s[0:1], v[64:65]
	v_mul_f64_e32 v[114:115], s[28:29], v[54:55]
	v_mul_f64_e32 v[54:55], s[20:21], v[54:55]
	v_mul_f64_e32 v[140:141], s[18:19], v[58:59]
	v_mul_f64_e32 v[142:143], s[26:27], v[58:59]
	v_mul_f64_e32 v[144:145], s[28:29], v[58:59]
	v_mul_f64_e32 v[58:59], s[20:21], v[58:59]
	v_mul_f64_e32 v[146:147], s[24:25], v[60:61]
	v_mul_f64_e32 v[148:149], s[20:21], v[60:61]
	v_add_f64_e32 v[30:31], v[30:31], v[38:39]
	v_add_f64_e32 v[28:29], v[28:29], v[50:51]
	v_mul_f64_e32 v[38:39], s[20:21], v[66:67]
	v_mul_f64_e32 v[132:133], s[16:17], v[34:35]
	;; [unrolled: 1-line block ×7, first 2 shown]
	v_fma_f64 v[70:71], v[52:53], s[0:1], -v[124:125]
	v_add_f64_e32 v[154:155], v[10:11], v[154:155]
	v_add_f64_e32 v[162:163], v[8:9], v[162:163]
	;; [unrolled: 1-line block ×9, first 2 shown]
	v_mul_f64_e32 v[66:67], s[24:25], v[66:67]
	v_fma_f64 v[184:185], v[52:53], s[10:11], -v[128:129]
	v_fma_f64 v[128:129], v[52:53], s[10:11], v[128:129]
	v_add_f64_e32 v[90:91], v[10:11], v[90:91]
	v_add_f64_e32 v[180:181], v[10:11], v[180:181]
	;; [unrolled: 1-line block ×8, first 2 shown]
	v_fma_f64 v[68:69], v[36:37], s[4:5], -v[108:109]
	v_mul_f64_e32 v[150:151], s[16:17], v[60:61]
	v_mul_f64_e32 v[60:61], s[18:19], v[60:61]
	;; [unrolled: 1-line block ×3, first 2 shown]
	v_add_f64_e32 v[26:27], v[26:27], v[30:31]
	v_add_f64_e32 v[24:25], v[24:25], v[28:29]
	v_fma_f64 v[28:29], v[72:73], s[14:15], -v[106:107]
	v_fma_f64 v[30:31], v[78:79], s[10:11], -v[116:117]
	v_fma_f64 v[106:107], v[78:79], s[10:11], v[116:117]
	v_fma_f64 v[116:117], v[78:79], s[14:15], -v[118:119]
	v_fma_f64 v[118:119], v[78:79], s[14:15], v[118:119]
	;; [unrolled: 2-line block ×3, first 2 shown]
	v_fma_f64 v[186:187], v[32:33], s[14:15], v[132:133]
	v_fma_f64 v[132:133], v[32:33], s[14:15], -v[132:133]
	v_fma_f64 v[188:189], v[32:33], s[0:1], v[134:135]
	v_fma_f64 v[134:135], v[32:33], s[0:1], -v[134:135]
	;; [unrolled: 2-line block ×3, first 2 shown]
	v_fma_f64 v[126:127], v[52:53], s[12:13], v[126:127]
	v_fma_f64 v[190:191], v[32:33], s[12:13], v[136:137]
	v_fma_f64 v[136:137], v[32:33], s[12:13], -v[136:137]
	v_fma_f64 v[176:177], v[36:37], s[10:11], v[38:39]
	v_fma_f64 v[38:39], v[36:37], s[10:11], -v[38:39]
	;; [unrolled: 2-line block ×3, first 2 shown]
	v_add_f64_e32 v[70:71], v[70:71], v[156:157]
	v_fma_f64 v[156:157], v[74:75], s[0:1], -v[114:115]
	v_fma_f64 v[114:115], v[74:75], s[0:1], v[114:115]
	v_add_f64_e32 v[10:11], v[184:185], v[10:11]
	v_add_f64_e32 v[22:23], v[22:23], v[26:27]
	;; [unrolled: 1-line block ×4, first 2 shown]
	v_fma_f64 v[24:25], v[32:33], s[10:11], v[138:139]
	v_fma_f64 v[94:95], v[32:33], s[10:11], -v[138:139]
	v_fma_f64 v[138:139], v[52:53], s[4:5], -v[80:81]
	v_fma_f64 v[52:53], v[52:53], s[4:5], v[80:81]
	v_fma_f64 v[80:81], v[32:33], s[4:5], -v[34:35]
	v_add_f64_e32 v[28:29], v[8:9], v[28:29]
	v_fma_f64 v[32:33], v[32:33], s[4:5], v[34:35]
	v_add_f64_e32 v[8:9], v[8:9], v[168:169]
	v_add_f64_e32 v[78:79], v[78:79], v[154:155]
	;; [unrolled: 1-line block ×9, first 2 shown]
	v_fma_f64 v[34:35], v[36:37], s[4:5], v[108:109]
	v_fma_f64 v[108:109], v[36:37], s[12:13], v[130:131]
	v_fma_f64 v[130:131], v[36:37], s[12:13], -v[130:131]
	v_fma_f64 v[168:169], v[36:37], s[0:1], v[66:67]
	v_fma_f64 v[36:37], v[36:37], s[0:1], -v[66:67]
	v_add_f64_e32 v[98:99], v[124:125], v[158:159]
	v_add_f64_e32 v[124:125], v[190:191], v[166:167]
	v_fma_f64 v[186:187], v[74:75], s[4:5], -v[88:89]
	v_fma_f64 v[88:89], v[74:75], s[4:5], v[88:89]
	v_fma_f64 v[122:123], v[74:75], s[12:13], -v[110:111]
	v_fma_f64 v[110:111], v[74:75], s[12:13], v[110:111]
	v_mul_f64_e32 v[66:67], s[20:21], v[62:63]
	v_mul_f64_e32 v[154:155], s[16:17], v[62:63]
	;; [unrolled: 1-line block ×3, first 2 shown]
	v_fma_f64 v[134:135], v[76:77], s[0:1], -v[144:145]
	v_fma_f64 v[136:137], v[76:77], s[10:11], v[58:59]
	v_fma_f64 v[58:59], v[76:77], s[10:11], -v[58:59]
	v_add_f64_e32 v[10:11], v[172:173], v[10:11]
	v_add_f64_e32 v[18:19], v[18:19], v[22:23]
	;; [unrolled: 1-line block ×5, first 2 shown]
	v_fma_f64 v[132:133], v[74:75], s[14:15], -v[112:113]
	v_add_f64_e32 v[126:127], v[138:139], v[160:161]
	v_add_f64_e32 v[52:53], v[52:53], v[90:91]
	;; [unrolled: 1-line block ×6, first 2 shown]
	v_fma_f64 v[112:113], v[74:75], s[14:15], v[112:113]
	v_fma_f64 v[20:21], v[74:75], s[10:11], -v[54:55]
	v_fma_f64 v[22:23], v[74:75], s[10:11], v[54:55]
	v_fma_f64 v[32:33], v[76:77], s[4:5], v[92:93]
	v_fma_f64 v[54:55], v[76:77], s[4:5], -v[92:93]
	v_fma_f64 v[56:57], v[76:77], s[12:13], v[140:141]
	v_fma_f64 v[74:75], v[76:77], s[12:13], -v[140:141]
	v_add_f64_e32 v[30:31], v[30:31], v[78:79]
	v_add_f64_e32 v[78:79], v[176:177], v[162:163]
	;; [unrolled: 1-line block ×5, first 2 shown]
	v_fma_f64 v[94:95], v[76:77], s[14:15], -v[142:143]
	v_add_f64_e32 v[86:87], v[104:105], v[86:87]
	v_add_f64_e32 v[68:69], v[68:69], v[102:103]
	v_fma_f64 v[92:93], v[76:77], s[14:15], v[142:143]
	v_add_f64_e32 v[84:85], v[170:171], v[98:99]
	v_add_f64_e32 v[34:35], v[34:35], v[124:125]
	v_fma_f64 v[128:129], v[76:77], s[0:1], v[144:145]
	v_fma_f64 v[76:77], v[42:43], s[0:1], -v[146:147]
	v_fma_f64 v[138:139], v[42:43], s[0:1], v[146:147]
	v_fma_f64 v[140:141], v[42:43], s[4:5], -v[96:97]
	;; [unrolled: 2-line block ×4, first 2 shown]
	v_fma_f64 v[118:119], v[40:41], s[14:15], v[154:155]
	v_add_f64_e32 v[14:15], v[14:15], v[18:19]
	v_add_f64_e32 v[26:27], v[38:39], v[26:27]
	v_add_f64_e32 v[38:39], v[116:117], v[70:71]
	v_add_f64_e32 v[70:71], v[178:179], v[164:165]
	v_add_f64_e32 v[24:25], v[108:109], v[24:25]
	v_add_f64_e32 v[12:13], v[12:13], v[16:17]
	v_add_f64_e32 v[52:53], v[64:65], v[52:53]
	v_add_f64_e32 v[64:65], v[130:131], v[90:91]
	v_add_f64_e32 v[28:29], v[36:37], v[28:29]
	v_add_f64_e32 v[36:37], v[120:121], v[80:81]
	v_add_f64_e32 v[98:99], v[174:175], v[126:127]
	v_add_f64_e32 v[8:9], v[168:169], v[8:9]
	v_fma_f64 v[80:81], v[42:43], s[10:11], -v[148:149]
	v_fma_f64 v[90:91], v[42:43], s[10:11], v[148:149]
	v_fma_f64 v[42:43], v[42:43], s[12:13], v[60:61]
	;; [unrolled: 1-line block ×3, first 2 shown]
	v_fma_f64 v[18:19], v[40:41], s[0:1], -v[152:153]
	v_fma_f64 v[60:61], v[40:41], s[4:5], v[100:101]
	v_fma_f64 v[100:101], v[40:41], s[4:5], -v[100:101]
	v_add_f64_e32 v[32:33], v[32:33], v[78:79]
	v_fma_f64 v[108:109], v[40:41], s[10:11], v[66:67]
	v_add_f64_e32 v[50:51], v[74:75], v[50:51]
	v_fma_f64 v[66:67], v[40:41], s[10:11], -v[66:67]
	v_fma_f64 v[116:117], v[40:41], s[14:15], -v[154:155]
	v_fma_f64 v[120:121], v[40:41], s[12:13], v[62:63]
	v_fma_f64 v[40:41], v[40:41], s[12:13], -v[62:63]
	v_add_f64_e32 v[62:63], v[88:89], v[82:83]
	v_add_f64_e32 v[30:31], v[186:187], v[30:31]
	;; [unrolled: 1-line block ×22, first 2 shown]
	v_mad_u32_u24 v50, 0xb0, v49, 0
	v_add_f64_e32 v[10:11], v[138:139], v[62:63]
	v_add_f64_e32 v[6:7], v[76:77], v[30:31]
	v_add_f64_e32 v[24:25], v[66:67], v[68:69]
	v_add_f64_e32 v[20:21], v[108:109], v[34:35]
	v_add_f64_e32 v[2:3], v[2:3], v[82:83]
	v_add_f64_e32 v[8:9], v[18:19], v[26:27]
	v_add_f64_e32 v[14:15], v[140:141], v[38:39]
	v_add_f64_e32 v[12:13], v[60:61], v[54:55]
	v_add_f64_e32 v[18:19], v[96:97], v[56:57]
	v_add_f64_e32 v[26:27], v[90:91], v[72:73]
	v_add_f64_e32 v[22:23], v[80:81], v[70:71]
	v_add_f64_e32 v[34:35], v[42:43], v[52:53]
	v_add_f64_e32 v[32:33], v[40:41], v[28:29]
	v_add_f64_e32 v[38:39], v[104:105], v[36:37]
	v_add_f64_e32 v[36:37], v[116:117], v[58:59]
	v_add_f64_e32 v[42:43], v[102:103], v[64:65]
	v_add_f64_e32 v[40:41], v[118:119], v[78:79]
	v_add_f64_e32 v[0:1], v[0:1], v[84:85]
	v_add_f64_e32 v[30:31], v[106:107], v[74:75]
	v_add_f64_e32 v[28:29], v[120:121], v[86:87]
	ds_store_b128 v50, v[16:19] offset:64
	ds_store_b128 v50, v[8:11] offset:80
	;; [unrolled: 1-line block ×9, first 2 shown]
	ds_store_b128 v50, v[0:3]
	ds_store_b128 v50, v[28:31] offset:160
.LBB0_15:
	s_or_b32 exec_lo, exec_lo, s33
	s_wait_loadcnt 0x0
	v_and_b32_e32 v0, 0xff, v49
	global_wb scope:SCOPE_SE
	s_wait_dscnt 0x0
	s_barrier_signal -1
	s_barrier_wait -1
	global_inv scope:SCOPE_SE
	v_mul_lo_u16 v0, 0x75, v0
	s_mov_b32 s0, 0x134454ff
	s_mov_b32 s1, 0x3fee6f0e
	;; [unrolled: 1-line block ×3, first 2 shown]
	s_wait_alu 0xfffe
	s_mov_b32 s4, s0
	v_lshrrev_b16 v0, 8, v0
	s_mov_b32 s12, 0x4755a5e
	s_mov_b32 s13, 0x3fe2cf23
	;; [unrolled: 1-line block ×3, first 2 shown]
	s_wait_alu 0xfffe
	s_mov_b32 s10, s12
	v_sub_nc_u16 v1, v49, v0
	s_mov_b32 s14, 0x372fe950
	s_mov_b32 s15, 0x3fd3c6ef
	s_delay_alu instid0(VALU_DEP_1) | instskip(NEXT) | instid1(VALU_DEP_1)
	v_lshrrev_b16 v1, 1, v1
	v_and_b32_e32 v1, 0x7f, v1
	s_delay_alu instid0(VALU_DEP_1) | instskip(NEXT) | instid1(VALU_DEP_1)
	v_add_nc_u16 v0, v1, v0
	v_lshrrev_b16 v43, 3, v0
	s_delay_alu instid0(VALU_DEP_1) | instskip(NEXT) | instid1(VALU_DEP_1)
	v_mul_lo_u16 v0, v43, 11
	v_sub_nc_u16 v0, v49, v0
	s_delay_alu instid0(VALU_DEP_1) | instskip(NEXT) | instid1(VALU_DEP_1)
	v_and_b32_e32 v60, 0xff, v0
	v_lshlrev_b32_e32 v0, 6, v60
	s_clause 0x3
	global_load_b128 v[1:4], v0, s[8:9]
	global_load_b128 v[5:8], v0, s[8:9] offset:16
	global_load_b128 v[9:12], v0, s[8:9] offset:32
	;; [unrolled: 1-line block ×3, first 2 shown]
	v_lshl_add_u32 v0, v49, 4, 0
	ds_load_b128 v[17:20], v0 offset:880
	ds_load_b128 v[21:24], v0 offset:1760
	;; [unrolled: 1-line block ×4, first 2 shown]
	s_wait_loadcnt_dscnt 0x303
	v_mul_f64_e32 v[33:34], v[19:20], v[3:4]
	s_wait_loadcnt_dscnt 0x202
	v_mul_f64_e32 v[35:36], v[23:24], v[7:8]
	;; [unrolled: 2-line block ×4, first 2 shown]
	v_mul_f64_e32 v[7:8], v[21:22], v[7:8]
	v_mul_f64_e32 v[11:12], v[25:26], v[11:12]
	;; [unrolled: 1-line block ×4, first 2 shown]
	v_fma_f64 v[17:18], v[17:18], v[1:2], -v[33:34]
	v_fma_f64 v[21:22], v[21:22], v[5:6], -v[35:36]
	;; [unrolled: 1-line block ×4, first 2 shown]
	v_fma_f64 v[5:6], v[23:24], v[5:6], v[7:8]
	v_fma_f64 v[7:8], v[27:28], v[9:10], v[11:12]
	;; [unrolled: 1-line block ×4, first 2 shown]
	ds_load_b128 v[1:4], v0
	global_wb scope:SCOPE_SE
	s_wait_dscnt 0x0
	s_barrier_signal -1
	s_barrier_wait -1
	global_inv scope:SCOPE_SE
	v_add_f64_e32 v[27:28], v[1:2], v[17:18]
	v_add_f64_e32 v[11:12], v[21:22], v[25:26]
	;; [unrolled: 1-line block ×3, first 2 shown]
	v_add_f64_e64 v[37:38], v[17:18], -v[29:30]
	v_add_f64_e32 v[15:16], v[5:6], v[7:8]
	v_add_f64_e32 v[35:36], v[3:4], v[19:20]
	;; [unrolled: 1-line block ×3, first 2 shown]
	v_add_f64_e64 v[31:32], v[19:20], -v[9:10]
	v_add_f64_e64 v[33:34], v[5:6], -v[7:8]
	;; [unrolled: 1-line block ×8, first 2 shown]
	v_fma_f64 v[11:12], v[11:12], -0.5, v[1:2]
	v_fma_f64 v[1:2], v[13:14], -0.5, v[1:2]
	v_add_f64_e64 v[13:14], v[21:22], -v[25:26]
	v_fma_f64 v[15:16], v[15:16], -0.5, v[3:4]
	v_add_f64_e32 v[5:6], v[35:36], v[5:6]
	v_fma_f64 v[3:4], v[23:24], -0.5, v[3:4]
	v_add_f64_e64 v[23:24], v[17:18], -v[21:22]
	v_add_f64_e64 v[17:18], v[21:22], -v[17:18]
	v_add_f64_e32 v[21:22], v[27:28], v[21:22]
	v_add_f64_e32 v[19:20], v[19:20], v[54:55]
	v_fma_f64 v[27:28], v[31:32], s[0:1], v[11:12]
	v_fma_f64 v[35:36], v[33:34], s[4:5], v[1:2]
	;; [unrolled: 1-line block ×8, first 2 shown]
	v_add_f64_e32 v[21:22], v[21:22], v[25:26]
	v_add_f64_e32 v[5:6], v[5:6], v[7:8]
	;; [unrolled: 1-line block ×5, first 2 shown]
	v_fma_f64 v[7:8], v[33:34], s[12:13], v[27:28]
	v_fma_f64 v[25:26], v[31:32], s[12:13], v[35:36]
	s_wait_alu 0xfffe
	v_fma_f64 v[27:28], v[31:32], s[10:11], v[1:2]
	v_fma_f64 v[31:32], v[13:14], s[10:11], v[56:57]
	;; [unrolled: 1-line block ×6, first 2 shown]
	v_add_f64_e32 v[1:2], v[21:22], v[29:30]
	v_add_f64_e32 v[3:4], v[5:6], v[9:10]
	v_and_b32_e32 v21, 0xffff, v43
	v_lshlrev_b32_e32 v22, 4, v60
	s_delay_alu instid0(VALU_DEP_2) | instskip(NEXT) | instid1(VALU_DEP_1)
	v_mul_u32_u24_e32 v21, 0x370, v21
	v_add3_u32 v21, 0, v21, v22
	v_fma_f64 v[5:6], v[23:24], s[14:15], v[7:8]
	v_fma_f64 v[13:14], v[17:18], s[14:15], v[25:26]
	;; [unrolled: 1-line block ×8, first 2 shown]
	ds_store_b128 v21, v[1:4]
	ds_store_b128 v21, v[5:8] offset:176
	ds_store_b128 v21, v[13:16] offset:352
	;; [unrolled: 1-line block ×4, first 2 shown]
	global_wb scope:SCOPE_SE
	s_wait_dscnt 0x0
	s_barrier_signal -1
	s_barrier_wait -1
	global_inv scope:SCOPE_SE
	s_and_saveexec_b32 s16, vcc_lo
	s_cbranch_execz .LBB0_17
; %bb.16:
	v_dual_mov_b32 v37, 0 :: v_dual_lshlrev_b32 v36, 2, v49
	s_delay_alu instid0(VALU_DEP_1) | instskip(NEXT) | instid1(VALU_DEP_1)
	v_lshlrev_b64_e32 v[1:2], 4, v[36:37]
	v_add_co_u32 v13, vcc_lo, s8, v1
	s_wait_alu 0xfffd
	s_delay_alu instid0(VALU_DEP_2)
	v_add_co_ci_u32_e32 v14, vcc_lo, s9, v2, vcc_lo
	s_clause 0x3
	global_load_b128 v[1:4], v[13:14], off offset:720
	global_load_b128 v[5:8], v[13:14], off offset:704
	;; [unrolled: 1-line block ×4, first 2 shown]
	ds_load_b128 v[17:20], v0 offset:1760
	ds_load_b128 v[21:24], v0 offset:880
	;; [unrolled: 1-line block ×4, first 2 shown]
	ds_load_b128 v[33:36], v0
	s_wait_loadcnt_dscnt 0x304
	v_mul_f64_e32 v[38:39], v[1:2], v[19:20]
	s_wait_loadcnt_dscnt 0x203
	v_mul_f64_e32 v[40:41], v[5:6], v[23:24]
	;; [unrolled: 2-line block ×4, first 2 shown]
	v_mul_f64_e32 v[19:20], v[3:4], v[19:20]
	v_mul_f64_e32 v[31:32], v[15:16], v[31:32]
	;; [unrolled: 1-line block ×4, first 2 shown]
	v_fma_f64 v[3:4], v[3:4], v[17:18], v[38:39]
	v_fma_f64 v[7:8], v[7:8], v[21:22], v[40:41]
	;; [unrolled: 1-line block ×4, first 2 shown]
	v_fma_f64 v[0:1], v[17:18], v[1:2], -v[19:20]
	v_fma_f64 v[13:14], v[29:30], v[13:14], -v[31:32]
	v_fma_f64 v[5:6], v[21:22], v[5:6], -v[23:24]
	v_fma_f64 v[9:10], v[25:26], v[9:10], -v[27:28]
	s_wait_dscnt 0x0
	v_add_f64_e32 v[29:30], v[7:8], v[35:36]
	v_add_f64_e32 v[17:18], v[7:8], v[11:12]
	;; [unrolled: 1-line block ×3, first 2 shown]
	v_add_f64_e64 v[38:39], v[3:4], -v[15:16]
	v_add_f64_e32 v[21:22], v[0:1], v[13:14]
	v_add_f64_e32 v[31:32], v[5:6], v[33:34]
	;; [unrolled: 1-line block ×3, first 2 shown]
	v_add_f64_e64 v[25:26], v[5:6], -v[9:10]
	v_add_f64_e64 v[27:28], v[0:1], -v[13:14]
	;; [unrolled: 1-line block ×8, first 2 shown]
	v_fma_f64 v[17:18], v[17:18], -0.5, v[35:36]
	v_fma_f64 v[19:20], v[19:20], -0.5, v[35:36]
	v_add_f64_e64 v[35:36], v[7:8], -v[11:12]
	v_fma_f64 v[21:22], v[21:22], -0.5, v[33:34]
	v_add_f64_e32 v[0:1], v[0:1], v[31:32]
	v_fma_f64 v[23:24], v[23:24], -0.5, v[33:34]
	v_add_f64_e64 v[33:34], v[3:4], -v[7:8]
	v_add_f64_e64 v[7:8], v[7:8], -v[3:4]
	v_add_f64_e32 v[2:3], v[3:4], v[29:30]
	v_fma_f64 v[29:30], v[27:28], s[4:5], v[17:18]
	v_fma_f64 v[17:18], v[27:28], s[0:1], v[17:18]
	;; [unrolled: 1-line block ×8, first 2 shown]
	v_add_f64_e32 v[2:3], v[15:16], v[2:3]
	v_add_f64_e32 v[0:1], v[13:14], v[0:1]
	;; [unrolled: 1-line block ×6, first 2 shown]
	v_fma_f64 v[4:5], v[25:26], s[12:13], v[29:30]
	v_fma_f64 v[13:14], v[25:26], s[10:11], v[17:18]
	v_fma_f64 v[15:16], v[27:28], s[12:13], v[31:32]
	v_fma_f64 v[17:18], v[27:28], s[10:11], v[19:20]
	v_fma_f64 v[25:26], v[38:39], s[12:13], v[55:56]
	v_fma_f64 v[27:28], v[35:36], s[12:13], v[57:58]
	v_fma_f64 v[23:24], v[35:36], s[10:11], v[23:24]
	v_fma_f64 v[20:21], v[38:39], s[10:11], v[21:22]
	v_add_f64_e32 v[2:3], v[11:12], v[2:3]
	v_add_f64_e32 v[0:1], v[9:10], v[0:1]
	v_mul_lo_u32 v22, s3, v46
	v_mul_lo_u32 v31, s2, v47
	v_mad_co_u64_u32 v[29:30], null, s2, v46, 0
	s_delay_alu instid0(VALU_DEP_1)
	v_add3_u32 v30, v30, v31, v22
	v_fma_f64 v[6:7], v[33:34], s[14:15], v[4:5]
	v_fma_f64 v[10:11], v[33:34], s[14:15], v[13:14]
	;; [unrolled: 1-line block ×8, first 2 shown]
	v_lshlrev_b64_e32 v[20:21], 4, v[29:30]
	v_lshlrev_b64_e32 v[22:23], 4, v[44:45]
	v_mov_b32_e32 v49, v37
	s_delay_alu instid0(VALU_DEP_3) | instskip(SKIP_1) | instid1(VALU_DEP_4)
	v_add_co_u32 v24, vcc_lo, s6, v20
	s_wait_alu 0xfffd
	v_add_co_ci_u32_e32 v25, vcc_lo, s7, v21, vcc_lo
	s_delay_alu instid0(VALU_DEP_3) | instskip(NEXT) | instid1(VALU_DEP_3)
	v_lshlrev_b64_e32 v[20:21], 4, v[48:49]
	v_add_co_u32 v22, vcc_lo, v24, v22
	s_wait_alu 0xfffd
	s_delay_alu instid0(VALU_DEP_3) | instskip(NEXT) | instid1(VALU_DEP_2)
	v_add_co_ci_u32_e32 v23, vcc_lo, v25, v23, vcc_lo
	v_add_co_u32 v20, vcc_lo, v22, v20
	s_wait_alu 0xfffd
	s_delay_alu instid0(VALU_DEP_2)
	v_add_co_ci_u32_e32 v21, vcc_lo, v23, v21, vcc_lo
	s_clause 0x4
	global_store_b128 v[20:21], v[0:3], off
	global_store_b128 v[20:21], v[16:19], off offset:880
	global_store_b128 v[20:21], v[8:11], off offset:1760
	;; [unrolled: 1-line block ×4, first 2 shown]
.LBB0_17:
	s_nop 0
	s_sendmsg sendmsg(MSG_DEALLOC_VGPRS)
	s_endpgm
	.section	.rodata,"a",@progbits
	.p2align	6, 0x0
	.amdhsa_kernel fft_rtc_fwd_len275_factors_11_5_5_wgs_55_tpt_55_dp_op_CI_CI_unitstride_sbrr_dirReg
		.amdhsa_group_segment_fixed_size 0
		.amdhsa_private_segment_fixed_size 0
		.amdhsa_kernarg_size 104
		.amdhsa_user_sgpr_count 2
		.amdhsa_user_sgpr_dispatch_ptr 0
		.amdhsa_user_sgpr_queue_ptr 0
		.amdhsa_user_sgpr_kernarg_segment_ptr 1
		.amdhsa_user_sgpr_dispatch_id 0
		.amdhsa_user_sgpr_private_segment_size 0
		.amdhsa_wavefront_size32 1
		.amdhsa_uses_dynamic_stack 0
		.amdhsa_enable_private_segment 0
		.amdhsa_system_sgpr_workgroup_id_x 1
		.amdhsa_system_sgpr_workgroup_id_y 0
		.amdhsa_system_sgpr_workgroup_id_z 0
		.amdhsa_system_sgpr_workgroup_info 0
		.amdhsa_system_vgpr_workitem_id 0
		.amdhsa_next_free_vgpr 192
		.amdhsa_next_free_sgpr 39
		.amdhsa_reserve_vcc 1
		.amdhsa_float_round_mode_32 0
		.amdhsa_float_round_mode_16_64 0
		.amdhsa_float_denorm_mode_32 3
		.amdhsa_float_denorm_mode_16_64 3
		.amdhsa_fp16_overflow 0
		.amdhsa_workgroup_processor_mode 1
		.amdhsa_memory_ordered 1
		.amdhsa_forward_progress 0
		.amdhsa_round_robin_scheduling 0
		.amdhsa_exception_fp_ieee_invalid_op 0
		.amdhsa_exception_fp_denorm_src 0
		.amdhsa_exception_fp_ieee_div_zero 0
		.amdhsa_exception_fp_ieee_overflow 0
		.amdhsa_exception_fp_ieee_underflow 0
		.amdhsa_exception_fp_ieee_inexact 0
		.amdhsa_exception_int_div_zero 0
	.end_amdhsa_kernel
	.text
.Lfunc_end0:
	.size	fft_rtc_fwd_len275_factors_11_5_5_wgs_55_tpt_55_dp_op_CI_CI_unitstride_sbrr_dirReg, .Lfunc_end0-fft_rtc_fwd_len275_factors_11_5_5_wgs_55_tpt_55_dp_op_CI_CI_unitstride_sbrr_dirReg
                                        ; -- End function
	.section	.AMDGPU.csdata,"",@progbits
; Kernel info:
; codeLenInByte = 5356
; NumSgprs: 41
; NumVgprs: 192
; ScratchSize: 0
; MemoryBound: 1
; FloatMode: 240
; IeeeMode: 1
; LDSByteSize: 0 bytes/workgroup (compile time only)
; SGPRBlocks: 5
; VGPRBlocks: 23
; NumSGPRsForWavesPerEU: 41
; NumVGPRsForWavesPerEU: 192
; Occupancy: 8
; WaveLimiterHint : 1
; COMPUTE_PGM_RSRC2:SCRATCH_EN: 0
; COMPUTE_PGM_RSRC2:USER_SGPR: 2
; COMPUTE_PGM_RSRC2:TRAP_HANDLER: 0
; COMPUTE_PGM_RSRC2:TGID_X_EN: 1
; COMPUTE_PGM_RSRC2:TGID_Y_EN: 0
; COMPUTE_PGM_RSRC2:TGID_Z_EN: 0
; COMPUTE_PGM_RSRC2:TIDIG_COMP_CNT: 0
	.text
	.p2alignl 7, 3214868480
	.fill 96, 4, 3214868480
	.type	__hip_cuid_68d1353f26d12054,@object ; @__hip_cuid_68d1353f26d12054
	.section	.bss,"aw",@nobits
	.globl	__hip_cuid_68d1353f26d12054
__hip_cuid_68d1353f26d12054:
	.byte	0                               ; 0x0
	.size	__hip_cuid_68d1353f26d12054, 1

	.ident	"AMD clang version 19.0.0git (https://github.com/RadeonOpenCompute/llvm-project roc-6.4.0 25133 c7fe45cf4b819c5991fe208aaa96edf142730f1d)"
	.section	".note.GNU-stack","",@progbits
	.addrsig
	.addrsig_sym __hip_cuid_68d1353f26d12054
	.amdgpu_metadata
---
amdhsa.kernels:
  - .args:
      - .actual_access:  read_only
        .address_space:  global
        .offset:         0
        .size:           8
        .value_kind:     global_buffer
      - .offset:         8
        .size:           8
        .value_kind:     by_value
      - .actual_access:  read_only
        .address_space:  global
        .offset:         16
        .size:           8
        .value_kind:     global_buffer
      - .actual_access:  read_only
        .address_space:  global
        .offset:         24
        .size:           8
        .value_kind:     global_buffer
      - .actual_access:  read_only
        .address_space:  global
        .offset:         32
        .size:           8
        .value_kind:     global_buffer
      - .offset:         40
        .size:           8
        .value_kind:     by_value
      - .actual_access:  read_only
        .address_space:  global
        .offset:         48
        .size:           8
        .value_kind:     global_buffer
      - .actual_access:  read_only
        .address_space:  global
        .offset:         56
        .size:           8
        .value_kind:     global_buffer
      - .offset:         64
        .size:           4
        .value_kind:     by_value
      - .actual_access:  read_only
        .address_space:  global
        .offset:         72
        .size:           8
        .value_kind:     global_buffer
      - .actual_access:  read_only
        .address_space:  global
        .offset:         80
        .size:           8
        .value_kind:     global_buffer
      - .actual_access:  read_only
        .address_space:  global
        .offset:         88
        .size:           8
        .value_kind:     global_buffer
      - .actual_access:  write_only
        .address_space:  global
        .offset:         96
        .size:           8
        .value_kind:     global_buffer
    .group_segment_fixed_size: 0
    .kernarg_segment_align: 8
    .kernarg_segment_size: 104
    .language:       OpenCL C
    .language_version:
      - 2
      - 0
    .max_flat_workgroup_size: 55
    .name:           fft_rtc_fwd_len275_factors_11_5_5_wgs_55_tpt_55_dp_op_CI_CI_unitstride_sbrr_dirReg
    .private_segment_fixed_size: 0
    .sgpr_count:     41
    .sgpr_spill_count: 0
    .symbol:         fft_rtc_fwd_len275_factors_11_5_5_wgs_55_tpt_55_dp_op_CI_CI_unitstride_sbrr_dirReg.kd
    .uniform_work_group_size: 1
    .uses_dynamic_stack: false
    .vgpr_count:     192
    .vgpr_spill_count: 0
    .wavefront_size: 32
    .workgroup_processor_mode: 1
amdhsa.target:   amdgcn-amd-amdhsa--gfx1201
amdhsa.version:
  - 1
  - 2
...

	.end_amdgpu_metadata
